;; amdgpu-corpus repo=ROCm/rocFFT kind=compiled arch=gfx906 opt=O3
	.text
	.amdgcn_target "amdgcn-amd-amdhsa--gfx906"
	.amdhsa_code_object_version 6
	.protected	fft_rtc_back_len198_factors_11_2_9_wgs_110_tpt_22_sp_ip_CI_unitstride_sbrr_C2R_dirReg ; -- Begin function fft_rtc_back_len198_factors_11_2_9_wgs_110_tpt_22_sp_ip_CI_unitstride_sbrr_C2R_dirReg
	.globl	fft_rtc_back_len198_factors_11_2_9_wgs_110_tpt_22_sp_ip_CI_unitstride_sbrr_C2R_dirReg
	.p2align	8
	.type	fft_rtc_back_len198_factors_11_2_9_wgs_110_tpt_22_sp_ip_CI_unitstride_sbrr_C2R_dirReg,@function
fft_rtc_back_len198_factors_11_2_9_wgs_110_tpt_22_sp_ip_CI_unitstride_sbrr_C2R_dirReg: ; @fft_rtc_back_len198_factors_11_2_9_wgs_110_tpt_22_sp_ip_CI_unitstride_sbrr_C2R_dirReg
; %bb.0:
	s_load_dwordx2 s[12:13], s[4:5], 0x50
	s_load_dwordx4 s[8:11], s[4:5], 0x0
	s_load_dwordx2 s[2:3], s[4:5], 0x18
	v_mul_u32_u24_e32 v1, 0xba3, v0
	v_lshrrev_b32_e32 v1, 16, v1
	v_mad_u64_u32 v[1:2], s[0:1], s6, 5, v[1:2]
	v_mov_b32_e32 v5, 0
	s_waitcnt lgkmcnt(0)
	v_cmp_lt_u64_e64 s[0:1], s[10:11], 2
	v_mov_b32_e32 v2, v5
	v_mov_b32_e32 v3, 0
	;; [unrolled: 1-line block ×3, first 2 shown]
	s_and_b64 vcc, exec, s[0:1]
	v_mov_b32_e32 v4, 0
	v_mov_b32_e32 v9, v1
	s_cbranch_vccnz .LBB0_8
; %bb.1:
	s_load_dwordx2 s[0:1], s[4:5], 0x10
	s_add_u32 s6, s2, 8
	s_addc_u32 s7, s3, 0
	v_mov_b32_e32 v3, 0
	v_mov_b32_e32 v8, v2
	s_waitcnt lgkmcnt(0)
	s_add_u32 s16, s0, 8
	s_mov_b64 s[14:15], 1
	v_mov_b32_e32 v4, 0
	s_addc_u32 s17, s1, 0
	v_mov_b32_e32 v7, v1
.LBB0_2:                                ; =>This Inner Loop Header: Depth=1
	s_load_dwordx2 s[18:19], s[16:17], 0x0
                                        ; implicit-def: $vgpr9_vgpr10
	s_waitcnt lgkmcnt(0)
	v_or_b32_e32 v6, s19, v8
	v_cmp_ne_u64_e32 vcc, 0, v[5:6]
	s_and_saveexec_b64 s[0:1], vcc
	s_xor_b64 s[20:21], exec, s[0:1]
	s_cbranch_execz .LBB0_4
; %bb.3:                                ;   in Loop: Header=BB0_2 Depth=1
	v_cvt_f32_u32_e32 v2, s18
	v_cvt_f32_u32_e32 v6, s19
	s_sub_u32 s0, 0, s18
	s_subb_u32 s1, 0, s19
	v_mac_f32_e32 v2, 0x4f800000, v6
	v_rcp_f32_e32 v2, v2
	v_mul_f32_e32 v2, 0x5f7ffffc, v2
	v_mul_f32_e32 v6, 0x2f800000, v2
	v_trunc_f32_e32 v6, v6
	v_mac_f32_e32 v2, 0xcf800000, v6
	v_cvt_u32_f32_e32 v6, v6
	v_cvt_u32_f32_e32 v2, v2
	v_mul_lo_u32 v9, s0, v6
	v_mul_hi_u32 v10, s0, v2
	v_mul_lo_u32 v12, s1, v2
	v_mul_lo_u32 v11, s0, v2
	v_add_u32_e32 v9, v10, v9
	v_add_u32_e32 v9, v9, v12
	v_mul_hi_u32 v10, v2, v11
	v_mul_lo_u32 v12, v2, v9
	v_mul_hi_u32 v14, v2, v9
	v_mul_hi_u32 v13, v6, v11
	v_mul_lo_u32 v11, v6, v11
	v_mul_hi_u32 v15, v6, v9
	v_add_co_u32_e32 v10, vcc, v10, v12
	v_addc_co_u32_e32 v12, vcc, 0, v14, vcc
	v_mul_lo_u32 v9, v6, v9
	v_add_co_u32_e32 v10, vcc, v10, v11
	v_addc_co_u32_e32 v10, vcc, v12, v13, vcc
	v_addc_co_u32_e32 v11, vcc, 0, v15, vcc
	v_add_co_u32_e32 v9, vcc, v10, v9
	v_addc_co_u32_e32 v10, vcc, 0, v11, vcc
	v_add_co_u32_e32 v2, vcc, v2, v9
	v_addc_co_u32_e32 v6, vcc, v6, v10, vcc
	v_mul_lo_u32 v9, s0, v6
	v_mul_hi_u32 v10, s0, v2
	v_mul_lo_u32 v11, s1, v2
	v_mul_lo_u32 v12, s0, v2
	v_add_u32_e32 v9, v10, v9
	v_add_u32_e32 v9, v9, v11
	v_mul_lo_u32 v13, v2, v9
	v_mul_hi_u32 v14, v2, v12
	v_mul_hi_u32 v15, v2, v9
	;; [unrolled: 1-line block ×3, first 2 shown]
	v_mul_lo_u32 v12, v6, v12
	v_mul_hi_u32 v10, v6, v9
	v_add_co_u32_e32 v13, vcc, v14, v13
	v_addc_co_u32_e32 v14, vcc, 0, v15, vcc
	v_mul_lo_u32 v9, v6, v9
	v_add_co_u32_e32 v12, vcc, v13, v12
	v_addc_co_u32_e32 v11, vcc, v14, v11, vcc
	v_addc_co_u32_e32 v10, vcc, 0, v10, vcc
	v_add_co_u32_e32 v9, vcc, v11, v9
	v_addc_co_u32_e32 v10, vcc, 0, v10, vcc
	v_add_co_u32_e32 v2, vcc, v2, v9
	v_addc_co_u32_e32 v6, vcc, v6, v10, vcc
	v_mad_u64_u32 v[9:10], s[0:1], v7, v6, 0
	v_mul_hi_u32 v11, v7, v2
	v_add_co_u32_e32 v13, vcc, v11, v9
	v_addc_co_u32_e32 v14, vcc, 0, v10, vcc
	v_mad_u64_u32 v[9:10], s[0:1], v8, v2, 0
	v_mad_u64_u32 v[11:12], s[0:1], v8, v6, 0
	v_add_co_u32_e32 v2, vcc, v13, v9
	v_addc_co_u32_e32 v2, vcc, v14, v10, vcc
	v_addc_co_u32_e32 v6, vcc, 0, v12, vcc
	v_add_co_u32_e32 v2, vcc, v2, v11
	v_addc_co_u32_e32 v6, vcc, 0, v6, vcc
	v_mul_lo_u32 v11, s19, v2
	v_mul_lo_u32 v12, s18, v6
	v_mad_u64_u32 v[9:10], s[0:1], s18, v2, 0
	v_add3_u32 v10, v10, v12, v11
	v_sub_u32_e32 v11, v8, v10
	v_mov_b32_e32 v12, s19
	v_sub_co_u32_e32 v9, vcc, v7, v9
	v_subb_co_u32_e64 v11, s[0:1], v11, v12, vcc
	v_subrev_co_u32_e64 v12, s[0:1], s18, v9
	v_subbrev_co_u32_e64 v11, s[0:1], 0, v11, s[0:1]
	v_cmp_le_u32_e64 s[0:1], s19, v11
	v_cndmask_b32_e64 v13, 0, -1, s[0:1]
	v_cmp_le_u32_e64 s[0:1], s18, v12
	v_cndmask_b32_e64 v12, 0, -1, s[0:1]
	v_cmp_eq_u32_e64 s[0:1], s19, v11
	v_cndmask_b32_e64 v11, v13, v12, s[0:1]
	v_add_co_u32_e64 v12, s[0:1], 2, v2
	v_addc_co_u32_e64 v13, s[0:1], 0, v6, s[0:1]
	v_add_co_u32_e64 v14, s[0:1], 1, v2
	v_addc_co_u32_e64 v15, s[0:1], 0, v6, s[0:1]
	v_subb_co_u32_e32 v10, vcc, v8, v10, vcc
	v_cmp_ne_u32_e64 s[0:1], 0, v11
	v_cmp_le_u32_e32 vcc, s19, v10
	v_cndmask_b32_e64 v11, v15, v13, s[0:1]
	v_cndmask_b32_e64 v13, 0, -1, vcc
	v_cmp_le_u32_e32 vcc, s18, v9
	v_cndmask_b32_e64 v9, 0, -1, vcc
	v_cmp_eq_u32_e32 vcc, s19, v10
	v_cndmask_b32_e32 v9, v13, v9, vcc
	v_cmp_ne_u32_e32 vcc, 0, v9
	v_cndmask_b32_e32 v10, v6, v11, vcc
	v_cndmask_b32_e64 v6, v14, v12, s[0:1]
	v_cndmask_b32_e32 v9, v2, v6, vcc
.LBB0_4:                                ;   in Loop: Header=BB0_2 Depth=1
	s_andn2_saveexec_b64 s[0:1], s[20:21]
	s_cbranch_execz .LBB0_6
; %bb.5:                                ;   in Loop: Header=BB0_2 Depth=1
	v_cvt_f32_u32_e32 v2, s18
	s_sub_i32 s20, 0, s18
	v_rcp_iflag_f32_e32 v2, v2
	v_mul_f32_e32 v2, 0x4f7ffffe, v2
	v_cvt_u32_f32_e32 v2, v2
	v_mul_lo_u32 v6, s20, v2
	v_mul_hi_u32 v6, v2, v6
	v_add_u32_e32 v2, v2, v6
	v_mul_hi_u32 v2, v7, v2
	v_mul_lo_u32 v6, v2, s18
	v_add_u32_e32 v9, 1, v2
	v_sub_u32_e32 v6, v7, v6
	v_subrev_u32_e32 v10, s18, v6
	v_cmp_le_u32_e32 vcc, s18, v6
	v_cndmask_b32_e32 v6, v6, v10, vcc
	v_cndmask_b32_e32 v2, v2, v9, vcc
	v_add_u32_e32 v9, 1, v2
	v_cmp_le_u32_e32 vcc, s18, v6
	v_cndmask_b32_e32 v9, v2, v9, vcc
	v_mov_b32_e32 v10, v5
.LBB0_6:                                ;   in Loop: Header=BB0_2 Depth=1
	s_or_b64 exec, exec, s[0:1]
	v_mul_lo_u32 v2, v10, s18
	v_mul_lo_u32 v6, v9, s19
	v_mad_u64_u32 v[11:12], s[0:1], v9, s18, 0
	s_load_dwordx2 s[0:1], s[6:7], 0x0
	s_add_u32 s14, s14, 1
	v_add3_u32 v2, v12, v6, v2
	v_sub_co_u32_e32 v6, vcc, v7, v11
	v_subb_co_u32_e32 v2, vcc, v8, v2, vcc
	s_waitcnt lgkmcnt(0)
	v_mul_lo_u32 v2, s0, v2
	v_mul_lo_u32 v7, s1, v6
	v_mad_u64_u32 v[3:4], s[0:1], s0, v6, v[3:4]
	s_addc_u32 s15, s15, 0
	s_add_u32 s6, s6, 8
	v_add3_u32 v4, v7, v4, v2
	v_mov_b32_e32 v6, s10
	v_mov_b32_e32 v7, s11
	s_addc_u32 s7, s7, 0
	v_cmp_ge_u64_e32 vcc, s[14:15], v[6:7]
	s_add_u32 s16, s16, 8
	s_addc_u32 s17, s17, 0
	s_cbranch_vccnz .LBB0_8
; %bb.7:                                ;   in Loop: Header=BB0_2 Depth=1
	v_mov_b32_e32 v7, v9
	v_mov_b32_e32 v8, v10
	s_branch .LBB0_2
.LBB0_8:
	s_lshl_b64 s[0:1], s[10:11], 3
	s_add_u32 s0, s2, s0
	s_addc_u32 s1, s3, s1
	s_load_dwordx2 s[0:1], s[0:1], 0x0
	s_mov_b32 s2, 0xcccccccd
	v_mul_hi_u32 v5, v1, s2
	s_mov_b32 s2, 0xba2e8bb
	s_waitcnt lgkmcnt(0)
	v_mul_lo_u32 v6, s0, v10
	v_mul_lo_u32 v7, s1, v9
	v_mad_u64_u32 v[2:3], s[0:1], s0, v9, v[3:4]
	s_load_dwordx2 s[0:1], s[4:5], 0x20
	v_lshrrev_b32_e32 v4, 2, v5
	v_mul_hi_u32 v5, v0, s2
	v_lshl_add_u32 v4, v4, 2, v4
	v_add3_u32 v3, v7, v3, v6
	v_sub_u32_e32 v1, v1, v4
	v_mul_u32_u24_e32 v4, 0xc7, v1
	s_waitcnt lgkmcnt(0)
	v_cmp_gt_u64_e32 vcc, s[0:1], v[9:10]
	v_mul_u32_u24_e32 v1, 22, v5
	v_lshlrev_b64 v[26:27], 3, v[2:3]
	v_sub_u32_e32 v24, v0, v1
	v_lshlrev_b32_e32 v32, 3, v4
	s_and_saveexec_b64 s[2:3], vcc
	s_cbranch_execz .LBB0_12
; %bb.9:
	v_mov_b32_e32 v25, 0
	v_mov_b32_e32 v1, s13
	v_add_co_u32_e64 v0, s[0:1], s12, v26
	v_lshlrev_b64 v[2:3], 3, v[24:25]
	v_addc_co_u32_e64 v1, s[0:1], v1, v27, s[0:1]
	v_add_co_u32_e64 v2, s[0:1], v0, v2
	v_addc_co_u32_e64 v3, s[0:1], v1, v3, s[0:1]
	global_load_dwordx2 v[5:6], v[2:3], off
	global_load_dwordx2 v[7:8], v[2:3], off offset:176
	global_load_dwordx2 v[9:10], v[2:3], off offset:352
	;; [unrolled: 1-line block ×8, first 2 shown]
	v_lshlrev_b32_e32 v2, 3, v24
	v_add3_u32 v2, 0, v32, v2
	v_cmp_eq_u32_e64 s[0:1], 21, v24
	s_waitcnt vmcnt(7)
	ds_write2_b64 v2, v[5:6], v[7:8] offset1:22
	s_waitcnt vmcnt(5)
	ds_write2_b64 v2, v[9:10], v[11:12] offset0:44 offset1:66
	s_waitcnt vmcnt(3)
	ds_write2_b64 v2, v[13:14], v[15:16] offset0:88 offset1:110
	;; [unrolled: 2-line block ×3, first 2 shown]
	s_waitcnt vmcnt(0)
	ds_write_b64 v2, v[21:22] offset:1408
	s_and_saveexec_b64 s[4:5], s[0:1]
	s_cbranch_execz .LBB0_11
; %bb.10:
	global_load_dwordx2 v[0:1], v[0:1], off offset:1584
	v_mov_b32_e32 v24, 21
	s_waitcnt vmcnt(0)
	ds_write_b64 v2, v[0:1] offset:1416
.LBB0_11:
	s_or_b64 exec, exec, s[4:5]
.LBB0_12:
	s_or_b64 exec, exec, s[2:3]
	v_lshl_add_u32 v31, v4, 3, 0
	v_lshlrev_b32_e32 v28, 3, v24
	v_add_u32_e32 v33, v31, v28
	s_waitcnt lgkmcnt(0)
	s_barrier
	v_sub_u32_e32 v5, v31, v28
	ds_read_b32 v6, v33
	ds_read_b32 v7, v5 offset:1584
	v_cmp_ne_u32_e64 s[0:1], 0, v24
                                        ; implicit-def: $vgpr2_vgpr3
	s_waitcnt lgkmcnt(0)
	v_add_f32_e32 v0, v7, v6
	v_sub_f32_e32 v1, v6, v7
	s_and_saveexec_b64 s[2:3], s[0:1]
	s_xor_b64 s[2:3], exec, s[2:3]
	s_cbranch_execz .LBB0_14
; %bb.13:
	v_mov_b32_e32 v25, 0
	v_lshlrev_b64 v[0:1], 3, v[24:25]
	v_mov_b32_e32 v2, s9
	v_add_co_u32_e64 v0, s[0:1], s8, v0
	v_addc_co_u32_e64 v1, s[0:1], v2, v1, s[0:1]
	global_load_dwordx2 v[2:3], v[0:1], off offset:1496
	ds_read_b32 v0, v5 offset:1588
	ds_read_b32 v1, v33 offset:4
	v_add_f32_e32 v8, v7, v6
	v_sub_f32_e32 v9, v6, v7
	s_waitcnt lgkmcnt(0)
	v_add_f32_e32 v10, v0, v1
	v_sub_f32_e32 v0, v1, v0
	s_waitcnt vmcnt(0)
	v_fma_f32 v11, v9, v3, v8
	v_fma_f32 v1, v10, v3, v0
	v_fma_f32 v6, -v9, v3, v8
	v_fma_f32 v7, v10, v3, -v0
	v_fma_f32 v0, -v2, v10, v11
	v_fmac_f32_e32 v1, v9, v2
	v_fmac_f32_e32 v6, v2, v10
	v_fmac_f32_e32 v7, v9, v2
	v_mov_b32_e32 v2, v24
	ds_write_b64 v5, v[6:7] offset:1584
	v_mov_b32_e32 v3, v25
.LBB0_14:
	s_andn2_saveexec_b64 s[0:1], s[2:3]
	s_cbranch_execz .LBB0_16
; %bb.15:
	ds_read_b64 v[2:3], v31 offset:792
	s_waitcnt lgkmcnt(0)
	v_add_f32_e32 v6, v2, v2
	v_mul_f32_e32 v7, -2.0, v3
	v_mov_b32_e32 v2, 0
	v_mov_b32_e32 v3, 0
	ds_write_b64 v31, v[6:7] offset:792
.LBB0_16:
	s_or_b64 exec, exec, s[0:1]
	s_add_u32 s0, s8, 0x5d8
	v_lshlrev_b64 v[2:3], 3, v[2:3]
	s_addc_u32 s1, s9, 0
	v_mov_b32_e32 v6, s1
	v_add_co_u32_e64 v2, s[0:1], s0, v2
	v_addc_co_u32_e64 v3, s[0:1], v6, v3, s[0:1]
	global_load_dwordx2 v[6:7], v[2:3], off offset:176
	global_load_dwordx2 v[8:9], v[2:3], off offset:352
	global_load_dwordx2 v[10:11], v[2:3], off offset:528
	ds_write_b64 v33, v[0:1]
	ds_read_b64 v[0:1], v33 offset:176
	ds_read_b64 v[12:13], v5 offset:1408
	v_cmp_gt_u32_e64 s[0:1], 11, v24
	s_waitcnt lgkmcnt(0)
	v_add_f32_e32 v14, v0, v12
	v_add_f32_e32 v15, v13, v1
	v_sub_f32_e32 v16, v0, v12
	v_sub_f32_e32 v0, v1, v13
	s_waitcnt vmcnt(2)
	v_fma_f32 v17, v16, v7, v14
	v_fma_f32 v1, v15, v7, v0
	v_fma_f32 v12, -v16, v7, v14
	v_fma_f32 v13, v15, v7, -v0
	v_fma_f32 v0, -v6, v15, v17
	v_fmac_f32_e32 v1, v16, v6
	v_fmac_f32_e32 v12, v6, v15
	;; [unrolled: 1-line block ×3, first 2 shown]
	ds_write_b64 v33, v[0:1] offset:176
	ds_write_b64 v5, v[12:13] offset:1408
	ds_read_b64 v[0:1], v33 offset:352
	ds_read_b64 v[6:7], v5 offset:1232
	s_waitcnt lgkmcnt(0)
	v_add_f32_e32 v12, v0, v6
	v_add_f32_e32 v13, v7, v1
	v_sub_f32_e32 v14, v0, v6
	v_sub_f32_e32 v0, v1, v7
	s_waitcnt vmcnt(1)
	v_fma_f32 v15, v14, v9, v12
	v_fma_f32 v1, v13, v9, v0
	v_fma_f32 v6, -v14, v9, v12
	v_fma_f32 v7, v13, v9, -v0
	v_fma_f32 v0, -v8, v13, v15
	v_fmac_f32_e32 v1, v14, v8
	v_fmac_f32_e32 v6, v8, v13
	v_fmac_f32_e32 v7, v14, v8
	ds_write_b64 v33, v[0:1] offset:352
	ds_write_b64 v5, v[6:7] offset:1232
	ds_read_b64 v[0:1], v33 offset:528
	ds_read_b64 v[6:7], v5 offset:1056
	s_waitcnt lgkmcnt(0)
	v_add_f32_e32 v8, v0, v6
	v_add_f32_e32 v9, v7, v1
	v_sub_f32_e32 v12, v0, v6
	v_sub_f32_e32 v0, v1, v7
	s_waitcnt vmcnt(0)
	v_fma_f32 v13, v12, v11, v8
	v_fma_f32 v1, v9, v11, v0
	v_fma_f32 v6, -v12, v11, v8
	v_fma_f32 v7, v9, v11, -v0
	v_fma_f32 v0, -v10, v9, v13
	v_fmac_f32_e32 v1, v12, v10
	v_fmac_f32_e32 v6, v10, v9
	;; [unrolled: 1-line block ×3, first 2 shown]
	ds_write_b64 v33, v[0:1] offset:528
	ds_write_b64 v5, v[6:7] offset:1056
	s_and_saveexec_b64 s[2:3], s[0:1]
	s_cbranch_execz .LBB0_18
; %bb.17:
	global_load_dwordx2 v[0:1], v[2:3], off offset:704
	ds_read_b64 v[2:3], v33 offset:704
	ds_read_b64 v[6:7], v5 offset:880
	s_waitcnt lgkmcnt(0)
	v_add_f32_e32 v8, v2, v6
	v_add_f32_e32 v9, v7, v3
	v_sub_f32_e32 v10, v2, v6
	v_sub_f32_e32 v3, v3, v7
	s_waitcnt vmcnt(0)
	v_fma_f32 v11, v10, v1, v8
	v_fma_f32 v2, v9, v1, v3
	v_fma_f32 v6, -v10, v1, v8
	v_fma_f32 v7, v9, v1, -v3
	v_fma_f32 v1, -v0, v9, v11
	v_fmac_f32_e32 v2, v10, v0
	v_fmac_f32_e32 v6, v0, v9
	;; [unrolled: 1-line block ×3, first 2 shown]
	ds_write_b64 v33, v[1:2] offset:704
	ds_write_b64 v5, v[6:7] offset:880
.LBB0_18:
	s_or_b64 exec, exec, s[2:3]
	v_lshl_add_u32 v34, v24, 3, 0
	v_lshl_add_u32 v25, v4, 3, v34
	s_waitcnt lgkmcnt(0)
	s_barrier
	s_barrier
	ds_read2_b64 v[20:23], v25 offset0:18 offset1:36
	ds_read2_b64 v[4:7], v25 offset0:162 offset1:180
	ds_read_b64 v[29:30], v33
	ds_read2_b64 v[16:19], v25 offset0:54 offset1:72
	ds_read2_b64 v[8:11], v25 offset0:126 offset1:144
	s_mov_b32 s6, 0x3ed4b147
	s_mov_b32 s7, 0xbf27a4f4
	s_waitcnt lgkmcnt(3)
	v_sub_f32_e32 v43, v21, v7
	v_add_f32_e32 v35, v6, v20
	v_add_f32_e32 v47, v7, v21
	v_mul_f32_e32 v50, 0xbf68dda4, v43
	v_sub_f32_e32 v46, v23, v5
	v_mul_f32_e32 v51, 0x3ed4b147, v47
	v_fma_f32 v0, v35, s6, -v50
	v_add_f32_e32 v37, v4, v22
	v_add_f32_e32 v48, v5, v23
	v_mul_f32_e32 v53, 0xbf4178ce, v46
	v_sub_f32_e32 v36, v20, v6
	s_waitcnt lgkmcnt(2)
	v_add_f32_e32 v0, v29, v0
	v_mov_b32_e32 v1, v51
	v_fma_f32 v2, v37, s7, -v53
	v_mul_f32_e32 v55, 0xbf27a4f4, v48
	v_fmac_f32_e32 v1, 0xbf68dda4, v36
	v_add_f32_e32 v0, v2, v0
	v_sub_f32_e32 v38, v22, v4
	v_mov_b32_e32 v2, v55
	s_waitcnt lgkmcnt(0)
	v_sub_f32_e32 v49, v17, v11
	v_add_f32_e32 v1, v30, v1
	v_fmac_f32_e32 v2, 0xbf4178ce, v38
	s_mov_b32 s10, 0xbf75a155
	v_add_f32_e32 v39, v10, v16
	v_mul_f32_e32 v56, 0x3e903f40, v49
	v_add_f32_e32 v54, v11, v17
	ds_read2_b64 v[12:15], v25 offset0:90 offset1:108
	v_add_f32_e32 v1, v2, v1
	v_fma_f32 v2, v39, s10, -v56
	v_mul_f32_e32 v60, 0xbf75a155, v54
	v_add_f32_e32 v0, v2, v0
	v_sub_f32_e32 v41, v16, v10
	v_mov_b32_e32 v2, v60
	v_sub_f32_e32 v52, v19, v9
	v_fmac_f32_e32 v2, 0x3e903f40, v41
	s_mov_b32 s11, 0xbe11bafb
	v_add_f32_e32 v40, v8, v18
	v_mul_f32_e32 v59, 0x3f7d64f0, v52
	v_add_f32_e32 v57, v9, v19
	v_add_f32_e32 v1, v2, v1
	v_fma_f32 v2, v40, s11, -v59
	v_mul_f32_e32 v62, 0xbe11bafb, v57
	v_add_f32_e32 v0, v2, v0
	v_sub_f32_e32 v42, v18, v8
	v_mov_b32_e32 v2, v62
	s_waitcnt lgkmcnt(0)
	v_add_f32_e32 v61, v15, v13
	v_sub_f32_e32 v58, v13, v15
	v_fmac_f32_e32 v2, 0x3f7d64f0, v42
	s_mov_b32 s14, 0x3f575c64
	v_mul_f32_e32 v64, 0x3f575c64, v61
	v_add_f32_e32 v44, v14, v12
	v_mul_f32_e32 v63, 0x3f0a6770, v58
	v_add_f32_e32 v1, v2, v1
	v_sub_f32_e32 v45, v12, v14
	v_mov_b32_e32 v3, v64
	v_fma_f32 v2, v44, s14, -v63
	v_mul_f32_e32 v65, 0xbf7d64f0, v43
	v_fmac_f32_e32 v3, 0x3f0a6770, v45
	v_add_f32_e32 v2, v2, v0
	v_fma_f32 v0, v35, s11, -v65
	v_mul_f32_e32 v69, 0x3e903f40, v46
	v_add_f32_e32 v3, v3, v1
	v_add_f32_e32 v0, v29, v0
	v_fma_f32 v1, v37, s10, -v69
	v_mul_f32_e32 v66, 0x3f68dda4, v49
	v_add_f32_e32 v0, v1, v0
	v_fma_f32 v1, v39, s6, -v66
	v_mul_f32_e32 v67, 0xbf0a6770, v52
	;; [unrolled: 3-line block ×4, first 2 shown]
	v_add_f32_e32 v0, v1, v0
	v_mov_b32_e32 v1, v70
	v_mul_f32_e32 v71, 0xbf75a155, v48
	v_fmac_f32_e32 v1, 0xbf7d64f0, v36
	v_mov_b32_e32 v72, v71
	v_add_f32_e32 v1, v30, v1
	v_fmac_f32_e32 v72, 0x3e903f40, v38
	v_add_f32_e32 v1, v72, v1
	v_mul_f32_e32 v72, 0x3ed4b147, v54
	v_mov_b32_e32 v73, v72
	v_fmac_f32_e32 v73, 0x3f68dda4, v41
	v_add_f32_e32 v1, v73, v1
	v_mul_f32_e32 v73, 0x3f575c64, v57
	v_mov_b32_e32 v74, v73
	;; [unrolled: 4-line block ×3, first 2 shown]
	v_fmac_f32_e32 v75, 0xbf4178ce, v45
	v_add_f32_e32 v1, v75, v1
	v_cmp_gt_u32_e64 s[2:3], 18, v24
	s_barrier
	s_and_saveexec_b64 s[4:5], s[2:3]
	s_cbranch_execz .LBB0_20
; %bb.19:
	v_add_f32_e32 v20, v29, v20
	v_add_f32_e32 v21, v30, v21
	;; [unrolled: 1-line block ×5, first 2 shown]
	v_mul_f32_e32 v81, 0xbe903f40, v43
	v_add_f32_e32 v17, v21, v17
	v_add_f32_e32 v80, v16, v18
	v_mov_b32_e32 v16, v81
	v_mul_f32_e32 v82, 0x3f0a6770, v46
	v_add_f32_e32 v79, v17, v19
	v_fmac_f32_e32 v16, 0xbf75a155, v35
	v_mov_b32_e32 v17, v82
	v_add_f32_e32 v16, v29, v16
	v_fmac_f32_e32 v17, 0x3f575c64, v37
	v_mul_f32_e32 v83, 0xbf4178ce, v49
	v_add_f32_e32 v16, v17, v16
	v_mov_b32_e32 v17, v83
	v_fmac_f32_e32 v17, 0xbf27a4f4, v39
	v_mul_f32_e32 v84, 0x3f68dda4, v52
	v_add_f32_e32 v16, v17, v16
	v_mov_b32_e32 v17, v84
	v_mul_f32_e32 v86, 0xbf7d64f0, v58
	v_fmac_f32_e32 v17, 0x3ed4b147, v40
	v_mov_b32_e32 v18, v86
	v_add_f32_e32 v16, v17, v16
	v_fmac_f32_e32 v18, 0xbe11bafb, v44
	v_mul_f32_e32 v87, 0xbf27a4f4, v47
	v_add_f32_e32 v16, v18, v16
	v_mov_b32_e32 v18, v87
	v_mul_f32_e32 v88, 0xbe11bafb, v48
	v_fmac_f32_e32 v18, 0x3f4178ce, v36
	v_mov_b32_e32 v19, v88
	v_add_f32_e32 v18, v30, v18
	v_fmac_f32_e32 v19, 0xbf7d64f0, v38
	v_mul_f32_e32 v89, 0x3f575c64, v54
	v_add_f32_e32 v18, v19, v18
	v_mov_b32_e32 v19, v89
	v_fmac_f32_e32 v19, 0x3f0a6770, v41
	v_mul_f32_e32 v90, 0xbf75a155, v57
	v_add_f32_e32 v18, v19, v18
	v_mov_b32_e32 v19, v90
	;; [unrolled: 4-line block ×3, first 2 shown]
	v_mul_f32_e32 v92, 0x3f7d64f0, v46
	v_fmac_f32_e32 v19, 0xbf27a4f4, v35
	v_mov_b32_e32 v20, v92
	v_mul_f32_e32 v75, 0xbf75a155, v47
	v_add_f32_e32 v19, v29, v19
	v_fmac_f32_e32 v20, 0xbe11bafb, v37
	v_mul_f32_e32 v93, 0xbf0a6770, v49
	v_mov_b32_e32 v22, v75
	v_mul_f32_e32 v76, 0x3f575c64, v48
	v_add_f32_e32 v19, v20, v19
	v_mov_b32_e32 v20, v93
	v_fmac_f32_e32 v22, 0x3e903f40, v36
	v_mov_b32_e32 v23, v76
	v_fmac_f32_e32 v20, 0x3f575c64, v39
	v_mul_f32_e32 v94, 0xbe903f40, v52
	v_add_f32_e32 v22, v30, v22
	v_fmac_f32_e32 v23, 0xbf0a6770, v38
	v_mul_f32_e32 v77, 0xbf27a4f4, v54
	v_add_f32_e32 v19, v20, v19
	v_mov_b32_e32 v20, v94
	v_add_f32_e32 v22, v23, v22
	v_mov_b32_e32 v23, v77
	v_fmac_f32_e32 v20, 0xbf75a155, v40
	v_mul_f32_e32 v95, 0x3ed4b147, v61
	v_fmac_f32_e32 v23, 0x3f4178ce, v41
	v_mul_f32_e32 v78, 0x3ed4b147, v57
	v_add_f32_e32 v20, v20, v19
	v_mov_b32_e32 v19, v95
	v_add_f32_e32 v22, v23, v22
	v_mov_b32_e32 v23, v78
	v_mul_f32_e32 v85, 0xbe11bafb, v61
	v_fmac_f32_e32 v19, 0xbf68dda4, v45
	v_mul_f32_e32 v96, 0x3f68dda4, v58
	v_fmac_f32_e32 v23, 0xbf68dda4, v42
	v_mov_b32_e32 v17, v85
	v_add_f32_e32 v19, v19, v18
	v_mov_b32_e32 v18, v96
	v_add_f32_e32 v22, v23, v22
	v_fmac_f32_e32 v17, 0x3f7d64f0, v45
	v_fmac_f32_e32 v18, 0x3ed4b147, v44
	v_add_f32_e32 v17, v17, v22
	v_add_f32_e32 v18, v18, v20
	v_mul_f32_e32 v20, 0xbf7d64f0, v36
	v_mul_f32_e32 v22, 0xbe11bafb, v35
	v_sub_f32_e32 v20, v70, v20
	v_mul_f32_e32 v21, 0x3e903f40, v38
	v_add_f32_e32 v22, v22, v65
	v_mul_f32_e32 v23, 0xbf75a155, v37
	v_sub_f32_e32 v21, v71, v21
	v_add_f32_e32 v20, v30, v20
	v_add_f32_e32 v23, v23, v69
	;; [unrolled: 1-line block ×4, first 2 shown]
	v_mul_f32_e32 v21, 0x3f68dda4, v41
	v_add_f32_e32 v22, v23, v22
	v_mul_f32_e32 v23, 0x3ed4b147, v39
	v_sub_f32_e32 v21, v72, v21
	v_add_f32_e32 v23, v23, v66
	v_add_f32_e32 v20, v21, v20
	v_mul_f32_e32 v21, 0xbf0a6770, v42
	v_add_f32_e32 v22, v23, v22
	v_mul_f32_e32 v23, 0x3f575c64, v40
	v_sub_f32_e32 v21, v73, v21
	v_add_f32_e32 v23, v23, v67
	v_add_f32_e32 v13, v79, v13
	;; [unrolled: 1-line block ×3, first 2 shown]
	v_mul_f32_e32 v21, 0xbf4178ce, v45
	v_add_f32_e32 v22, v23, v22
	v_mul_f32_e32 v23, 0xbf27a4f4, v44
	v_add_f32_e32 v15, v13, v15
	v_sub_f32_e32 v21, v74, v21
	v_add_f32_e32 v23, v23, v68
	v_add_f32_e32 v9, v15, v9
	;; [unrolled: 1-line block ×4, first 2 shown]
	v_mul_f32_e32 v22, 0xbf68dda4, v36
	v_add_f32_e32 v12, v80, v12
	v_add_f32_e32 v9, v9, v11
	v_sub_f32_e32 v22, v51, v22
	v_mul_f32_e32 v51, 0x3ed4b147, v35
	v_add_f32_e32 v14, v12, v14
	v_add_f32_e32 v5, v9, v5
	v_mul_f32_e32 v23, 0xbf4178ce, v38
	v_add_f32_e32 v50, v51, v50
	v_mul_f32_e32 v51, 0xbf27a4f4, v37
	v_add_f32_e32 v5, v5, v7
	v_add_f32_e32 v7, v14, v8
	v_sub_f32_e32 v23, v55, v23
	v_add_f32_e32 v22, v30, v22
	v_add_f32_e32 v51, v51, v53
	;; [unrolled: 1-line block ×5, first 2 shown]
	v_mul_f32_e32 v23, 0x3e903f40, v41
	v_add_f32_e32 v50, v51, v50
	v_mul_f32_e32 v51, 0xbf75a155, v39
	v_add_f32_e32 v4, v7, v4
	v_fmac_f32_e32 v75, 0xbe903f40, v36
	v_sub_f32_e32 v23, v60, v23
	v_add_f32_e32 v51, v51, v56
	v_add_f32_e32 v4, v4, v6
	;; [unrolled: 1-line block ×3, first 2 shown]
	v_fmac_f32_e32 v76, 0x3f0a6770, v38
	v_add_f32_e32 v22, v23, v22
	v_mul_f32_e32 v23, 0x3f7d64f0, v42
	v_add_f32_e32 v50, v51, v50
	v_mul_f32_e32 v51, 0xbe11bafb, v40
	v_add_f32_e32 v6, v76, v6
	v_fmac_f32_e32 v77, 0xbf4178ce, v41
	v_sub_f32_e32 v23, v62, v23
	v_add_f32_e32 v51, v51, v59
	v_add_f32_e32 v6, v77, v6
	v_fmac_f32_e32 v78, 0x3f68dda4, v42
	v_add_f32_e32 v22, v23, v22
	v_mul_f32_e32 v23, 0x3f0a6770, v45
	v_add_f32_e32 v50, v51, v50
	v_mul_f32_e32 v51, 0x3f575c64, v44
	v_add_f32_e32 v6, v78, v6
	v_fmac_f32_e32 v85, 0xbf7d64f0, v45
	v_sub_f32_e32 v23, v64, v23
	v_add_f32_e32 v51, v51, v63
	v_mul_f32_e32 v47, 0x3f575c64, v47
	v_add_f32_e32 v7, v85, v6
	v_fma_f32 v6, v35, s10, -v81
	v_add_f32_e32 v23, v23, v22
	v_add_f32_e32 v22, v51, v50
	v_mov_b32_e32 v50, v47
	v_mul_f32_e32 v48, 0x3ed4b147, v48
	v_add_f32_e32 v6, v29, v6
	v_fma_f32 v8, v37, s14, -v82
	v_fmac_f32_e32 v50, 0x3f0a6770, v36
	v_mov_b32_e32 v51, v48
	v_add_f32_e32 v6, v8, v6
	v_fma_f32 v8, v39, s7, -v83
	v_add_f32_e32 v50, v30, v50
	v_fmac_f32_e32 v51, 0x3f68dda4, v38
	v_add_f32_e32 v6, v8, v6
	v_fma_f32 v8, v40, s6, -v84
	v_add_f32_e32 v50, v51, v50
	v_mul_f32_e32 v51, 0xbe11bafb, v54
	v_add_f32_e32 v6, v8, v6
	v_fma_f32 v8, v44, s11, -v86
	v_fmac_f32_e32 v87, 0xbf4178ce, v36
	v_mov_b32_e32 v53, v51
	v_add_f32_e32 v6, v8, v6
	v_add_f32_e32 v8, v30, v87
	v_fmac_f32_e32 v88, 0x3f7d64f0, v38
	v_fmac_f32_e32 v53, 0x3f7d64f0, v41
	v_add_f32_e32 v8, v88, v8
	v_fmac_f32_e32 v89, 0xbf0a6770, v41
	v_add_f32_e32 v50, v53, v50
	v_mul_f32_e32 v53, 0xbf27a4f4, v57
	v_add_f32_e32 v8, v89, v8
	v_fmac_f32_e32 v90, 0xbe903f40, v42
	v_mov_b32_e32 v54, v53
	v_add_f32_e32 v8, v90, v8
	v_fmac_f32_e32 v95, 0x3f68dda4, v45
	v_fmac_f32_e32 v54, 0x3f4178ce, v42
	v_add_f32_e32 v9, v95, v8
	v_fma_f32 v8, v35, s7, -v91
	v_add_f32_e32 v50, v54, v50
	v_mul_f32_e32 v54, 0xbf75a155, v61
	v_add_f32_e32 v8, v29, v8
	v_fma_f32 v10, v37, s11, -v92
	v_mov_b32_e32 v12, v54
	v_add_f32_e32 v8, v10, v8
	v_fma_f32 v10, v39, s14, -v93
	v_fmac_f32_e32 v12, 0x3e903f40, v45
	v_mul_f32_e32 v43, 0xbf0a6770, v43
	v_add_f32_e32 v8, v10, v8
	v_fma_f32 v10, v40, s10, -v94
	v_add_f32_e32 v13, v12, v50
	v_mov_b32_e32 v12, v43
	v_mul_f32_e32 v46, 0xbf68dda4, v46
	v_add_f32_e32 v8, v10, v8
	v_fma_f32 v10, v44, s6, -v96
	v_fmac_f32_e32 v47, 0xbf0a6770, v36
	v_fmac_f32_e32 v12, 0x3f575c64, v35
	v_mov_b32_e32 v50, v46
	v_add_f32_e32 v8, v10, v8
	v_add_f32_e32 v10, v30, v47
	v_fmac_f32_e32 v48, 0xbf68dda4, v38
	v_add_f32_e32 v12, v29, v12
	v_fmac_f32_e32 v50, 0x3ed4b147, v37
	v_mul_f32_e32 v49, 0xbf7d64f0, v49
	v_add_f32_e32 v10, v48, v10
	v_fmac_f32_e32 v51, 0xbf7d64f0, v41
	v_add_f32_e32 v12, v50, v12
	v_mov_b32_e32 v50, v49
	v_add_f32_e32 v10, v51, v10
	v_fmac_f32_e32 v53, 0xbf4178ce, v42
	v_fmac_f32_e32 v50, 0xbe11bafb, v39
	v_add_f32_e32 v10, v53, v10
	v_fmac_f32_e32 v54, 0xbe903f40, v45
	v_add_f32_e32 v12, v50, v12
	v_mul_f32_e32 v50, 0xbf4178ce, v52
	v_add_f32_e32 v11, v54, v10
	v_fma_f32 v10, v35, s14, -v43
	v_mov_b32_e32 v52, v50
	v_add_f32_e32 v10, v29, v10
	v_fma_f32 v14, v37, s6, -v46
	v_fmac_f32_e32 v52, 0xbf27a4f4, v40
	v_add_f32_e32 v10, v14, v10
	v_fma_f32 v14, v39, s11, -v49
	v_add_f32_e32 v12, v52, v12
	v_mul_f32_e32 v52, 0xbe903f40, v58
	v_add_f32_e32 v10, v14, v10
	v_fma_f32 v14, v40, s7, -v50
	v_mov_b32_e32 v55, v52
	v_add_f32_e32 v10, v14, v10
	v_fma_f32 v14, v44, s10, -v52
	v_fmac_f32_e32 v55, 0xbf75a155, v44
	v_add_f32_e32 v10, v14, v10
	v_mul_u32_u24_e32 v14, 0x50, v24
	v_add_f32_e32 v12, v55, v12
	v_add3_u32 v14, v34, v14, v32
	ds_write2_b64 v14, v[4:5], v[12:13] offset1:1
	ds_write2_b64 v14, v[22:23], v[20:21] offset0:2 offset1:3
	ds_write2_b64 v14, v[18:19], v[16:17] offset0:4 offset1:5
	;; [unrolled: 1-line block ×4, first 2 shown]
	ds_write_b64 v14, v[10:11] offset:80
.LBB0_20:
	s_or_b64 exec, exec, s[4:5]
	s_waitcnt lgkmcnt(0)
	s_barrier
	ds_read2_b64 v[4:7], v25 offset0:66 offset1:99
	ds_read2_b64 v[8:11], v25 offset0:22 offset1:44
	;; [unrolled: 1-line block ×3, first 2 shown]
	ds_read_b64 v[20:21], v33
	ds_read_b64 v[18:19], v25 offset:1320
	s_and_saveexec_b64 s[2:3], s[0:1]
	s_cbranch_execz .LBB0_22
; %bb.21:
	ds_read2_b64 v[0:3], v25 offset0:88 offset1:187
.LBB0_22:
	s_or_b64 exec, exec, s[2:3]
	v_add_u32_e32 v16, -11, v24
	v_cndmask_b32_e64 v16, v16, v24, s[0:1]
	v_mov_b32_e32 v17, 0
	v_lshlrev_b64 v[22:23], 3, v[16:17]
	v_mov_b32_e32 v30, s9
	v_add_co_u32_e64 v29, s[2:3], s8, v22
	v_add_u16_e32 v22, 22, v24
	s_movk_i32 s4, 0x75
	v_addc_co_u32_e64 v30, s[2:3], v30, v23, s[2:3]
	v_mul_lo_u16_sdwa v23, v22, s4 dst_sel:DWORD dst_unused:UNUSED_PAD src0_sel:BYTE_0 src1_sel:DWORD
	v_sub_u16_sdwa v34, v22, v23 dst_sel:DWORD dst_unused:UNUSED_PAD src0_sel:DWORD src1_sel:BYTE_1
	v_lshrrev_b16_e32 v34, 1, v34
	v_and_b32_e32 v34, 0x7f, v34
	v_add_u16_sdwa v23, v34, v23 dst_sel:DWORD dst_unused:UNUSED_PAD src0_sel:DWORD src1_sel:BYTE_1
	v_lshrrev_b16_e32 v23, 3, v23
	v_mul_lo_u16_e32 v34, 11, v23
	v_sub_u16_e32 v34, v22, v34
	v_mov_b32_e32 v22, 3
	v_lshlrev_b32_sdwa v40, v22, v34 dst_sel:DWORD dst_unused:UNUSED_PAD src0_sel:DWORD src1_sel:BYTE_0
	v_add_u16_e32 v34, 44, v24
	v_mul_lo_u16_sdwa v35, v34, s4 dst_sel:DWORD dst_unused:UNUSED_PAD src0_sel:BYTE_0 src1_sel:DWORD
	v_sub_u16_sdwa v36, v34, v35 dst_sel:DWORD dst_unused:UNUSED_PAD src0_sel:DWORD src1_sel:BYTE_1
	v_lshrrev_b16_e32 v36, 1, v36
	v_and_b32_e32 v36, 0x7f, v36
	v_add_u16_sdwa v35, v36, v35 dst_sel:DWORD dst_unused:UNUSED_PAD src0_sel:DWORD src1_sel:BYTE_1
	v_lshrrev_b16_e32 v41, 3, v35
	v_mul_lo_u16_e32 v35, 11, v41
	v_sub_u16_e32 v34, v34, v35
	v_add_u16_e32 v36, 0x42, v24
	v_lshlrev_b32_sdwa v42, v22, v34 dst_sel:DWORD dst_unused:UNUSED_PAD src0_sel:DWORD src1_sel:BYTE_0
	v_mul_lo_u16_sdwa v34, v36, s4 dst_sel:DWORD dst_unused:UNUSED_PAD src0_sel:BYTE_0 src1_sel:DWORD
	v_sub_u16_sdwa v35, v36, v34 dst_sel:DWORD dst_unused:UNUSED_PAD src0_sel:DWORD src1_sel:BYTE_1
	v_lshrrev_b16_e32 v35, 1, v35
	v_and_b32_e32 v35, 0x7f, v35
	global_load_dwordx2 v[29:30], v[29:30], off
	v_add_u16_sdwa v34, v35, v34 dst_sel:DWORD dst_unused:UNUSED_PAD src0_sel:DWORD src1_sel:BYTE_1
	v_lshrrev_b16_e32 v43, 3, v34
	v_mul_lo_u16_e32 v37, 11, v43
	v_sub_u16_e32 v38, v36, v37
	global_load_dwordx2 v[34:35], v40, s[8:9]
	global_load_dwordx2 v[36:37], v42, s[8:9]
	v_lshlrev_b32_sdwa v44, v22, v38 dst_sel:DWORD dst_unused:UNUSED_PAD src0_sel:DWORD src1_sel:BYTE_0
	global_load_dwordx2 v[38:39], v44, s[8:9]
	s_movk_i32 s5, 0xb0
	v_mad_u32_u24 v23, v23, s5, 0
	v_mad_u32_u24 v41, v41, s5, 0
	v_mov_b32_e32 v45, 0xb0
	v_cmp_lt_u32_e64 s[2:3], 10, v24
	v_add3_u32 v23, v23, v40, v32
	v_add3_u32 v40, v41, v42, v32
	v_cndmask_b32_e64 v45, 0, v45, s[2:3]
	v_add_u32_e32 v45, 0, v45
	v_lshlrev_b32_e32 v16, 3, v16
	v_add3_u32 v16, v45, v16, v32
	s_waitcnt vmcnt(0) lgkmcnt(0)
	s_barrier
	v_mad_u32_u24 v43, v43, s5, 0
	v_mul_f32_e32 v41, v30, v7
	v_mul_f32_e32 v30, v30, v6
	v_fmac_f32_e32 v41, v29, v6
	v_fma_f32 v7, v29, v7, -v30
	v_sub_f32_e32 v6, v20, v41
	v_sub_f32_e32 v7, v21, v7
	v_fma_f32 v20, v20, 2.0, -v6
	v_fma_f32 v21, v21, 2.0, -v7
	ds_write2_b64 v16, v[20:21], v[6:7] offset1:11
	v_mul_f32_e32 v6, v35, v13
	v_mul_f32_e32 v7, v35, v12
	;; [unrolled: 1-line block ×6, first 2 shown]
	v_fmac_f32_e32 v6, v34, v12
	v_fma_f32 v7, v34, v13, -v7
	v_fmac_f32_e32 v16, v36, v14
	v_fma_f32 v13, v36, v15, -v20
	;; [unrolled: 2-line block ×3, first 2 shown]
	v_sub_f32_e32 v6, v8, v6
	v_sub_f32_e32 v7, v9, v7
	;; [unrolled: 1-line block ×6, first 2 shown]
	v_fma_f32 v8, v8, 2.0, -v6
	v_fma_f32 v9, v9, 2.0, -v7
	;; [unrolled: 1-line block ×6, first 2 shown]
	ds_write2_b64 v23, v[8:9], v[6:7] offset1:11
	ds_write2_b64 v40, v[10:11], v[12:13] offset1:11
	v_add3_u32 v6, v43, v44, v32
	ds_write2_b64 v6, v[4:5], v[14:15] offset1:11
	s_and_saveexec_b64 s[2:3], s[0:1]
	s_cbranch_execz .LBB0_24
; %bb.23:
	v_add_u16_e32 v4, 0x58, v24
	v_mul_lo_u16_sdwa v5, v4, s4 dst_sel:DWORD dst_unused:UNUSED_PAD src0_sel:BYTE_0 src1_sel:DWORD
	v_sub_u16_sdwa v6, v4, v5 dst_sel:DWORD dst_unused:UNUSED_PAD src0_sel:DWORD src1_sel:BYTE_1
	v_lshrrev_b16_e32 v6, 1, v6
	v_and_b32_e32 v6, 0x7f, v6
	v_add_u16_sdwa v5, v6, v5 dst_sel:DWORD dst_unused:UNUSED_PAD src0_sel:DWORD src1_sel:BYTE_1
	v_lshrrev_b16_e32 v5, 3, v5
	v_mul_lo_u16_e32 v5, 11, v5
	v_sub_u16_e32 v4, v4, v5
	v_lshlrev_b32_sdwa v6, v22, v4 dst_sel:DWORD dst_unused:UNUSED_PAD src0_sel:DWORD src1_sel:BYTE_0
	global_load_dwordx2 v[4:5], v6, s[8:9]
	v_add3_u32 v6, 0, v6, v32
	s_waitcnt vmcnt(0)
	v_mul_f32_e32 v7, v2, v5
	v_mul_f32_e32 v5, v3, v5
	v_fma_f32 v3, v3, v4, -v7
	v_fmac_f32_e32 v5, v2, v4
	v_sub_f32_e32 v3, v1, v3
	v_sub_f32_e32 v2, v0, v5
	v_fma_f32 v1, v1, 2.0, -v3
	v_fma_f32 v0, v0, 2.0, -v2
	ds_write2_b64 v6, v[0:1], v[2:3] offset0:176 offset1:187
.LBB0_24:
	s_or_b64 exec, exec, s[2:3]
	v_mov_b32_e32 v29, v17
	v_lshlrev_b64 v[0:1], 3, v[28:29]
	v_mov_b32_e32 v2, s9
	v_add_co_u32_e64 v16, s[0:1], s8, v0
	v_addc_co_u32_e64 v17, s[0:1], v2, v1, s[0:1]
	s_waitcnt lgkmcnt(0)
	s_barrier
	global_load_dwordx4 v[0:3], v[16:17], off offset:88
	global_load_dwordx4 v[4:7], v[16:17], off offset:104
	;; [unrolled: 1-line block ×4, first 2 shown]
	ds_read_b64 v[28:29], v33
	ds_read2_b64 v[16:19], v25 offset0:22 offset1:44
	ds_read2_b64 v[20:23], v25 offset0:66 offset1:88
	;; [unrolled: 1-line block ×4, first 2 shown]
	s_waitcnt lgkmcnt(4)
	v_mov_b32_e32 v40, v29
	v_mov_b32_e32 v30, v28
	s_mov_b32 s0, 0xbf248dbb
	s_waitcnt vmcnt(0) lgkmcnt(0)
	s_barrier
	v_mul_f32_e32 v41, v1, v17
	v_mul_f32_e32 v1, v1, v16
	;; [unrolled: 1-line block ×12, first 2 shown]
	v_fmac_f32_e32 v41, v0, v16
	v_fma_f32 v0, v0, v17, -v1
	v_fmac_f32_e32 v42, v2, v18
	v_fma_f32 v1, v2, v19, -v3
	v_fma_f32 v2, v4, v21, -v5
	v_fmac_f32_e32 v48, v38, v14
	v_fma_f32 v5, v39, v14, -v15
	v_mul_f32_e32 v44, v7, v23
	v_mul_f32_e32 v45, v9, v33
	;; [unrolled: 1-line block ×3, first 2 shown]
	v_fmac_f32_e32 v43, v4, v20
	v_fma_f32 v3, v35, v10, -v11
	v_fmac_f32_e32 v47, v36, v12
	v_fma_f32 v4, v37, v12, -v13
	v_add_f32_e32 v15, v0, v5
	v_sub_f32_e32 v12, v41, v48
	v_mul_f32_e32 v7, v7, v22
	v_fmac_f32_e32 v44, v6, v22
	v_fma_f32 v17, v8, v33, -v9
	v_fmac_f32_e32 v46, v34, v10
	v_add_f32_e32 v19, v1, v4
	v_add_f32_e32 v21, v2, v3
	v_sub_f32_e32 v22, v42, v47
	v_sub_f32_e32 v33, v2, v3
	v_mul_f32_e32 v3, 0x3f248dbb, v12
	v_fmac_f32_e32 v40, 0x3f441b7d, v15
	v_fma_f32 v16, v6, v23, -v7
	v_fmac_f32_e32 v45, v8, v32
	v_sub_f32_e32 v32, v43, v46
	v_fmac_f32_e32 v3, 0x3f7c1c5c, v22
	v_fmac_f32_e32 v40, 0x3e31d0d4, v19
	v_add_f32_e32 v14, v41, v48
	v_sub_f32_e32 v13, v0, v5
	v_sub_f32_e32 v34, v44, v45
	v_add_f32_e32 v37, v16, v17
	v_fmac_f32_e32 v3, 0x3f5db3d7, v32
	v_fmac_f32_e32 v40, -0.5, v21
	v_add_f32_e32 v18, v42, v47
	v_sub_f32_e32 v23, v1, v4
	v_sub_f32_e32 v35, v16, v17
	v_mul_f32_e32 v2, 0x3f248dbb, v13
	v_fmac_f32_e32 v30, 0x3f441b7d, v14
	v_fmac_f32_e32 v3, 0x3eaf1d44, v34
	;; [unrolled: 1-line block ×3, first 2 shown]
	v_add_f32_e32 v20, v43, v46
	v_fmac_f32_e32 v2, 0x3f7c1c5c, v23
	v_fmac_f32_e32 v30, 0x3e31d0d4, v18
	v_add_f32_e32 v1, v3, v40
	v_add_f32_e32 v9, v35, v13
	;; [unrolled: 1-line block ×4, first 2 shown]
	v_fmac_f32_e32 v2, 0x3f5db3d7, v33
	v_fmac_f32_e32 v30, -0.5, v20
	v_add_f32_e32 v8, v34, v12
	v_sub_f32_e32 v11, v9, v23
	v_add_f32_e32 v9, v21, v29
	v_add_f32_e32 v39, v18, v14
	;; [unrolled: 1-line block ×3, first 2 shown]
	v_mul_f32_e32 v7, 0xbf248dbb, v34
	v_mul_f32_e32 v6, 0xbf248dbb, v35
	v_fmac_f32_e32 v2, 0x3eaf1d44, v35
	v_fmac_f32_e32 v30, 0xbf708fb2, v36
	v_sub_f32_e32 v10, v8, v22
	v_add_f32_e32 v8, v20, v28
	v_add_f32_e32 v41, v36, v39
	v_fmac_f32_e32 v9, -0.5, v42
	v_fmac_f32_e32 v7, 0x3f7c1c5c, v12
	v_sub_f32_e32 v0, v30, v2
	v_fmac_f32_e32 v6, 0x3f7c1c5c, v13
	v_mul_f32_e32 v30, 0x3f5db3d7, v10
	v_fmac_f32_e32 v8, -0.5, v41
	v_fmac_f32_e32 v9, 0x3f5db3d7, v10
	v_fmac_f32_e32 v7, 0xbf5db3d7, v32
	;; [unrolled: 1-line block ×3, first 2 shown]
	v_mul_f32_e32 v38, 0x3f5db3d7, v11
	v_fmac_f32_e32 v8, 0xbf5db3d7, v11
	v_fma_f32 v11, -2.0, v30, v9
	v_mul_f32_e32 v30, 0x3f7c1c5c, v34
	v_mul_f32_e32 v34, 0x3f7c1c5c, v35
	v_fmac_f32_e32 v7, 0x3eaf1d44, v22
	v_fmac_f32_e32 v6, 0x3eaf1d44, v23
	v_fma_f32 v22, v22, s0, -v30
	v_fma_f32 v23, v23, s0, -v34
	v_fmac_f32_e32 v22, 0x3f5db3d7, v32
	v_fmac_f32_e32 v23, 0x3f5db3d7, v33
	;; [unrolled: 1-line block ×4, first 2 shown]
	v_add_f32_e32 v12, v20, v39
	v_add_f32_e32 v13, v21, v40
	;; [unrolled: 1-line block ×4, first 2 shown]
	v_mov_b32_e32 v4, v28
	v_mov_b32_e32 v5, v29
	v_add_f32_e32 v12, v45, v12
	v_add_f32_e32 v13, v17, v13
	v_fmac_f32_e32 v4, 0x3f441b7d, v36
	v_fmac_f32_e32 v5, 0x3f441b7d, v37
	v_add_f32_e32 v12, v28, v12
	v_add_f32_e32 v13, v29, v13
	v_fmac_f32_e32 v28, 0x3f441b7d, v18
	v_fmac_f32_e32 v29, 0x3f441b7d, v19
	;; [unrolled: 1-line block ×6, first 2 shown]
	v_fmac_f32_e32 v4, -0.5, v20
	v_fmac_f32_e32 v5, -0.5, v21
	;; [unrolled: 1-line block ×4, first 2 shown]
	v_fmac_f32_e32 v4, 0xbf708fb2, v18
	v_fmac_f32_e32 v5, 0xbf708fb2, v19
	;; [unrolled: 1-line block ×4, first 2 shown]
	v_sub_f32_e32 v4, v4, v6
	v_add_f32_e32 v5, v7, v5
	v_sub_f32_e32 v14, v28, v23
	v_add_f32_e32 v15, v22, v29
	v_fma_f32 v2, 2.0, v2, v0
	v_fma_f32 v3, -2.0, v3, v1
	v_fma_f32 v6, 2.0, v6, v4
	v_fma_f32 v7, -2.0, v7, v5
	v_fma_f32 v10, 2.0, v38, v8
	v_fma_f32 v16, 2.0, v23, v14
	v_fma_f32 v17, -2.0, v22, v15
	ds_write2_b64 v25, v[12:13], v[0:1] offset1:22
	ds_write2_b64 v25, v[4:5], v[8:9] offset0:44 offset1:66
	ds_write2_b64 v25, v[14:15], v[16:17] offset0:88 offset1:110
	;; [unrolled: 1-line block ×3, first 2 shown]
	ds_write_b64 v25, v[2:3] offset:1408
	s_waitcnt lgkmcnt(0)
	s_barrier
	s_and_saveexec_b64 s[0:1], vcc
	s_cbranch_execz .LBB0_26
; %bb.25:
	v_lshl_add_u32 v6, v24, 3, v31
	v_mov_b32_e32 v25, 0
	ds_read2_b64 v[0:3], v6 offset1:22
	v_mov_b32_e32 v4, s13
	v_add_co_u32_e32 v7, vcc, s12, v26
	v_addc_co_u32_e32 v8, vcc, v4, v27, vcc
	v_lshlrev_b64 v[4:5], 3, v[24:25]
	v_add_co_u32_e32 v4, vcc, v7, v4
	v_addc_co_u32_e32 v5, vcc, v8, v5, vcc
	s_waitcnt lgkmcnt(0)
	global_store_dwordx2 v[4:5], v[0:1], off
	v_add_u32_e32 v0, 22, v24
	v_mov_b32_e32 v1, v25
	v_lshlrev_b64 v[0:1], 3, v[0:1]
	v_add_u32_e32 v4, 44, v24
	v_add_co_u32_e32 v0, vcc, v7, v0
	v_addc_co_u32_e32 v1, vcc, v8, v1, vcc
	global_store_dwordx2 v[0:1], v[2:3], off
	v_mov_b32_e32 v5, v25
	ds_read2_b64 v[0:3], v6 offset0:44 offset1:66
	v_lshlrev_b64 v[4:5], 3, v[4:5]
	v_add_co_u32_e32 v4, vcc, v7, v4
	v_addc_co_u32_e32 v5, vcc, v8, v5, vcc
	s_waitcnt lgkmcnt(0)
	global_store_dwordx2 v[4:5], v[0:1], off
	v_add_u32_e32 v0, 0x42, v24
	v_mov_b32_e32 v1, v25
	v_lshlrev_b64 v[0:1], 3, v[0:1]
	v_add_u32_e32 v4, 0x58, v24
	v_add_co_u32_e32 v0, vcc, v7, v0
	v_addc_co_u32_e32 v1, vcc, v8, v1, vcc
	global_store_dwordx2 v[0:1], v[2:3], off
	v_mov_b32_e32 v5, v25
	ds_read2_b64 v[0:3], v6 offset0:88 offset1:110
	;; [unrolled: 14-line block ×3, first 2 shown]
	v_lshlrev_b64 v[4:5], 3, v[4:5]
	v_add_co_u32_e32 v4, vcc, v7, v4
	v_addc_co_u32_e32 v5, vcc, v8, v5, vcc
	s_waitcnt lgkmcnt(0)
	global_store_dwordx2 v[4:5], v[0:1], off
	v_add_u32_e32 v0, 0x9a, v24
	v_mov_b32_e32 v1, v25
	v_lshlrev_b64 v[0:1], 3, v[0:1]
	v_add_u32_e32 v24, 0xb0, v24
	v_add_co_u32_e32 v0, vcc, v7, v0
	v_addc_co_u32_e32 v1, vcc, v8, v1, vcc
	global_store_dwordx2 v[0:1], v[2:3], off
	ds_read_b64 v[0:1], v6 offset:1408
	v_lshlrev_b64 v[2:3], 3, v[24:25]
	v_add_co_u32_e32 v2, vcc, v7, v2
	v_addc_co_u32_e32 v3, vcc, v8, v3, vcc
	s_waitcnt lgkmcnt(0)
	global_store_dwordx2 v[2:3], v[0:1], off
.LBB0_26:
	s_endpgm
	.section	.rodata,"a",@progbits
	.p2align	6, 0x0
	.amdhsa_kernel fft_rtc_back_len198_factors_11_2_9_wgs_110_tpt_22_sp_ip_CI_unitstride_sbrr_C2R_dirReg
		.amdhsa_group_segment_fixed_size 0
		.amdhsa_private_segment_fixed_size 0
		.amdhsa_kernarg_size 88
		.amdhsa_user_sgpr_count 6
		.amdhsa_user_sgpr_private_segment_buffer 1
		.amdhsa_user_sgpr_dispatch_ptr 0
		.amdhsa_user_sgpr_queue_ptr 0
		.amdhsa_user_sgpr_kernarg_segment_ptr 1
		.amdhsa_user_sgpr_dispatch_id 0
		.amdhsa_user_sgpr_flat_scratch_init 0
		.amdhsa_user_sgpr_private_segment_size 0
		.amdhsa_uses_dynamic_stack 0
		.amdhsa_system_sgpr_private_segment_wavefront_offset 0
		.amdhsa_system_sgpr_workgroup_id_x 1
		.amdhsa_system_sgpr_workgroup_id_y 0
		.amdhsa_system_sgpr_workgroup_id_z 0
		.amdhsa_system_sgpr_workgroup_info 0
		.amdhsa_system_vgpr_workitem_id 0
		.amdhsa_next_free_vgpr 97
		.amdhsa_next_free_sgpr 22
		.amdhsa_reserve_vcc 1
		.amdhsa_reserve_flat_scratch 0
		.amdhsa_float_round_mode_32 0
		.amdhsa_float_round_mode_16_64 0
		.amdhsa_float_denorm_mode_32 3
		.amdhsa_float_denorm_mode_16_64 3
		.amdhsa_dx10_clamp 1
		.amdhsa_ieee_mode 1
		.amdhsa_fp16_overflow 0
		.amdhsa_exception_fp_ieee_invalid_op 0
		.amdhsa_exception_fp_denorm_src 0
		.amdhsa_exception_fp_ieee_div_zero 0
		.amdhsa_exception_fp_ieee_overflow 0
		.amdhsa_exception_fp_ieee_underflow 0
		.amdhsa_exception_fp_ieee_inexact 0
		.amdhsa_exception_int_div_zero 0
	.end_amdhsa_kernel
	.text
.Lfunc_end0:
	.size	fft_rtc_back_len198_factors_11_2_9_wgs_110_tpt_22_sp_ip_CI_unitstride_sbrr_C2R_dirReg, .Lfunc_end0-fft_rtc_back_len198_factors_11_2_9_wgs_110_tpt_22_sp_ip_CI_unitstride_sbrr_C2R_dirReg
                                        ; -- End function
	.section	.AMDGPU.csdata,"",@progbits
; Kernel info:
; codeLenInByte = 6612
; NumSgprs: 26
; NumVgprs: 97
; ScratchSize: 0
; MemoryBound: 0
; FloatMode: 240
; IeeeMode: 1
; LDSByteSize: 0 bytes/workgroup (compile time only)
; SGPRBlocks: 3
; VGPRBlocks: 24
; NumSGPRsForWavesPerEU: 26
; NumVGPRsForWavesPerEU: 97
; Occupancy: 2
; WaveLimiterHint : 1
; COMPUTE_PGM_RSRC2:SCRATCH_EN: 0
; COMPUTE_PGM_RSRC2:USER_SGPR: 6
; COMPUTE_PGM_RSRC2:TRAP_HANDLER: 0
; COMPUTE_PGM_RSRC2:TGID_X_EN: 1
; COMPUTE_PGM_RSRC2:TGID_Y_EN: 0
; COMPUTE_PGM_RSRC2:TGID_Z_EN: 0
; COMPUTE_PGM_RSRC2:TIDIG_COMP_CNT: 0
	.type	__hip_cuid_69547e37ab89026b,@object ; @__hip_cuid_69547e37ab89026b
	.section	.bss,"aw",@nobits
	.globl	__hip_cuid_69547e37ab89026b
__hip_cuid_69547e37ab89026b:
	.byte	0                               ; 0x0
	.size	__hip_cuid_69547e37ab89026b, 1

	.ident	"AMD clang version 19.0.0git (https://github.com/RadeonOpenCompute/llvm-project roc-6.4.0 25133 c7fe45cf4b819c5991fe208aaa96edf142730f1d)"
	.section	".note.GNU-stack","",@progbits
	.addrsig
	.addrsig_sym __hip_cuid_69547e37ab89026b
	.amdgpu_metadata
---
amdhsa.kernels:
  - .args:
      - .actual_access:  read_only
        .address_space:  global
        .offset:         0
        .size:           8
        .value_kind:     global_buffer
      - .offset:         8
        .size:           8
        .value_kind:     by_value
      - .actual_access:  read_only
        .address_space:  global
        .offset:         16
        .size:           8
        .value_kind:     global_buffer
      - .actual_access:  read_only
        .address_space:  global
        .offset:         24
        .size:           8
        .value_kind:     global_buffer
      - .offset:         32
        .size:           8
        .value_kind:     by_value
      - .actual_access:  read_only
        .address_space:  global
        .offset:         40
        .size:           8
        .value_kind:     global_buffer
      - .actual_access:  read_only
        .address_space:  global
        .offset:         48
        .size:           8
        .value_kind:     global_buffer
      - .offset:         56
        .size:           4
        .value_kind:     by_value
      - .actual_access:  read_only
        .address_space:  global
        .offset:         64
        .size:           8
        .value_kind:     global_buffer
      - .actual_access:  read_only
        .address_space:  global
        .offset:         72
        .size:           8
        .value_kind:     global_buffer
      - .address_space:  global
        .offset:         80
        .size:           8
        .value_kind:     global_buffer
    .group_segment_fixed_size: 0
    .kernarg_segment_align: 8
    .kernarg_segment_size: 88
    .language:       OpenCL C
    .language_version:
      - 2
      - 0
    .max_flat_workgroup_size: 110
    .name:           fft_rtc_back_len198_factors_11_2_9_wgs_110_tpt_22_sp_ip_CI_unitstride_sbrr_C2R_dirReg
    .private_segment_fixed_size: 0
    .sgpr_count:     26
    .sgpr_spill_count: 0
    .symbol:         fft_rtc_back_len198_factors_11_2_9_wgs_110_tpt_22_sp_ip_CI_unitstride_sbrr_C2R_dirReg.kd
    .uniform_work_group_size: 1
    .uses_dynamic_stack: false
    .vgpr_count:     97
    .vgpr_spill_count: 0
    .wavefront_size: 64
amdhsa.target:   amdgcn-amd-amdhsa--gfx906
amdhsa.version:
  - 1
  - 2
...

	.end_amdgpu_metadata
